;; amdgpu-corpus repo=ROCm/rocFFT kind=compiled arch=gfx1201 opt=O3
	.text
	.amdgcn_target "amdgcn-amd-amdhsa--gfx1201"
	.amdhsa_code_object_version 6
	.protected	fft_rtc_fwd_len154_factors_11_7_2_wgs_110_tpt_22_half_ip_CI_unitstride_sbrr_dirReg ; -- Begin function fft_rtc_fwd_len154_factors_11_7_2_wgs_110_tpt_22_half_ip_CI_unitstride_sbrr_dirReg
	.globl	fft_rtc_fwd_len154_factors_11_7_2_wgs_110_tpt_22_half_ip_CI_unitstride_sbrr_dirReg
	.p2align	8
	.type	fft_rtc_fwd_len154_factors_11_7_2_wgs_110_tpt_22_half_ip_CI_unitstride_sbrr_dirReg,@function
fft_rtc_fwd_len154_factors_11_7_2_wgs_110_tpt_22_half_ip_CI_unitstride_sbrr_dirReg: ; @fft_rtc_fwd_len154_factors_11_7_2_wgs_110_tpt_22_half_ip_CI_unitstride_sbrr_dirReg
; %bb.0:
	s_load_b128 s[4:7], s[0:1], 0x0
	v_mul_u32_u24_e32 v1, 0xba3, v0
	s_clause 0x1
	s_load_b64 s[8:9], s[0:1], 0x50
	s_load_b64 s[10:11], s[0:1], 0x18
	v_mov_b32_e32 v5, 0
	v_lshrrev_b32_e32 v1, 16, v1
	s_delay_alu instid0(VALU_DEP_1) | instskip(SKIP_3) | instid1(VALU_DEP_1)
	v_mad_co_u64_u32 v[1:2], null, ttmp9, 5, v[1:2]
	v_mov_b32_e32 v3, 0
	v_mov_b32_e32 v4, 0
	;; [unrolled: 1-line block ×4, first 2 shown]
	s_wait_kmcnt 0x0
	v_cmp_lt_u64_e64 s2, s[6:7], 2
	v_mov_b32_e32 v9, v1
	s_delay_alu instid0(VALU_DEP_2)
	s_and_b32 vcc_lo, exec_lo, s2
	s_cbranch_vccnz .LBB0_8
; %bb.1:
	s_load_b64 s[2:3], s[0:1], 0x10
	v_dual_mov_b32 v3, 0 :: v_dual_mov_b32 v8, v2
	v_dual_mov_b32 v4, 0 :: v_dual_mov_b32 v7, v1
	s_add_nc_u64 s[12:13], s[10:11], 8
	s_mov_b64 s[14:15], 1
	s_wait_kmcnt 0x0
	s_add_nc_u64 s[16:17], s[2:3], 8
	s_mov_b32 s3, 0
.LBB0_2:                                ; =>This Inner Loop Header: Depth=1
	s_load_b64 s[18:19], s[16:17], 0x0
                                        ; implicit-def: $vgpr9_vgpr10
	s_mov_b32 s2, exec_lo
	s_wait_kmcnt 0x0
	v_or_b32_e32 v6, s19, v8
	s_delay_alu instid0(VALU_DEP_1)
	v_cmpx_ne_u64_e32 0, v[5:6]
	s_wait_alu 0xfffe
	s_xor_b32 s20, exec_lo, s2
	s_cbranch_execz .LBB0_4
; %bb.3:                                ;   in Loop: Header=BB0_2 Depth=1
	s_cvt_f32_u32 s2, s18
	s_cvt_f32_u32 s21, s19
	s_sub_nc_u64 s[24:25], 0, s[18:19]
	s_wait_alu 0xfffe
	s_delay_alu instid0(SALU_CYCLE_1) | instskip(SKIP_1) | instid1(SALU_CYCLE_2)
	s_fmamk_f32 s2, s21, 0x4f800000, s2
	s_wait_alu 0xfffe
	v_s_rcp_f32 s2, s2
	s_delay_alu instid0(TRANS32_DEP_1) | instskip(SKIP_1) | instid1(SALU_CYCLE_2)
	s_mul_f32 s2, s2, 0x5f7ffffc
	s_wait_alu 0xfffe
	s_mul_f32 s21, s2, 0x2f800000
	s_wait_alu 0xfffe
	s_delay_alu instid0(SALU_CYCLE_2) | instskip(SKIP_1) | instid1(SALU_CYCLE_2)
	s_trunc_f32 s21, s21
	s_wait_alu 0xfffe
	s_fmamk_f32 s2, s21, 0xcf800000, s2
	s_cvt_u32_f32 s23, s21
	s_wait_alu 0xfffe
	s_delay_alu instid0(SALU_CYCLE_1) | instskip(SKIP_1) | instid1(SALU_CYCLE_2)
	s_cvt_u32_f32 s22, s2
	s_wait_alu 0xfffe
	s_mul_u64 s[26:27], s[24:25], s[22:23]
	s_wait_alu 0xfffe
	s_mul_hi_u32 s29, s22, s27
	s_mul_i32 s28, s22, s27
	s_mul_hi_u32 s2, s22, s26
	s_mul_i32 s30, s23, s26
	s_wait_alu 0xfffe
	s_add_nc_u64 s[28:29], s[2:3], s[28:29]
	s_mul_hi_u32 s21, s23, s26
	s_mul_hi_u32 s31, s23, s27
	s_add_co_u32 s2, s28, s30
	s_wait_alu 0xfffe
	s_add_co_ci_u32 s2, s29, s21
	s_mul_i32 s26, s23, s27
	s_add_co_ci_u32 s27, s31, 0
	s_wait_alu 0xfffe
	s_add_nc_u64 s[26:27], s[2:3], s[26:27]
	s_wait_alu 0xfffe
	v_add_co_u32 v2, s2, s22, s26
	s_delay_alu instid0(VALU_DEP_1) | instskip(SKIP_1) | instid1(VALU_DEP_1)
	s_cmp_lg_u32 s2, 0
	s_add_co_ci_u32 s23, s23, s27
	v_readfirstlane_b32 s22, v2
	s_wait_alu 0xfffe
	s_delay_alu instid0(VALU_DEP_1)
	s_mul_u64 s[24:25], s[24:25], s[22:23]
	s_wait_alu 0xfffe
	s_mul_hi_u32 s27, s22, s25
	s_mul_i32 s26, s22, s25
	s_mul_hi_u32 s2, s22, s24
	s_mul_i32 s28, s23, s24
	s_wait_alu 0xfffe
	s_add_nc_u64 s[26:27], s[2:3], s[26:27]
	s_mul_hi_u32 s21, s23, s24
	s_mul_hi_u32 s22, s23, s25
	s_wait_alu 0xfffe
	s_add_co_u32 s2, s26, s28
	s_add_co_ci_u32 s2, s27, s21
	s_mul_i32 s24, s23, s25
	s_add_co_ci_u32 s25, s22, 0
	s_wait_alu 0xfffe
	s_add_nc_u64 s[24:25], s[2:3], s[24:25]
	s_wait_alu 0xfffe
	v_add_co_u32 v2, s2, v2, s24
	s_delay_alu instid0(VALU_DEP_1) | instskip(SKIP_1) | instid1(VALU_DEP_1)
	s_cmp_lg_u32 s2, 0
	s_add_co_ci_u32 s2, s23, s25
	v_mul_hi_u32 v6, v7, v2
	s_wait_alu 0xfffe
	v_mad_co_u64_u32 v[9:10], null, v7, s2, 0
	v_mad_co_u64_u32 v[11:12], null, v8, v2, 0
	;; [unrolled: 1-line block ×3, first 2 shown]
	s_delay_alu instid0(VALU_DEP_3) | instskip(SKIP_1) | instid1(VALU_DEP_4)
	v_add_co_u32 v2, vcc_lo, v6, v9
	s_wait_alu 0xfffd
	v_add_co_ci_u32_e32 v6, vcc_lo, 0, v10, vcc_lo
	s_delay_alu instid0(VALU_DEP_2) | instskip(SKIP_1) | instid1(VALU_DEP_2)
	v_add_co_u32 v2, vcc_lo, v2, v11
	s_wait_alu 0xfffd
	v_add_co_ci_u32_e32 v2, vcc_lo, v6, v12, vcc_lo
	s_wait_alu 0xfffd
	v_add_co_ci_u32_e32 v6, vcc_lo, 0, v14, vcc_lo
	s_delay_alu instid0(VALU_DEP_2) | instskip(SKIP_1) | instid1(VALU_DEP_2)
	v_add_co_u32 v2, vcc_lo, v2, v13
	s_wait_alu 0xfffd
	v_add_co_ci_u32_e32 v6, vcc_lo, 0, v6, vcc_lo
	s_delay_alu instid0(VALU_DEP_2) | instskip(SKIP_1) | instid1(VALU_DEP_3)
	v_mul_lo_u32 v11, s19, v2
	v_mad_co_u64_u32 v[9:10], null, s18, v2, 0
	v_mul_lo_u32 v12, s18, v6
	s_delay_alu instid0(VALU_DEP_2) | instskip(NEXT) | instid1(VALU_DEP_2)
	v_sub_co_u32 v9, vcc_lo, v7, v9
	v_add3_u32 v10, v10, v12, v11
	s_delay_alu instid0(VALU_DEP_1) | instskip(SKIP_1) | instid1(VALU_DEP_1)
	v_sub_nc_u32_e32 v11, v8, v10
	s_wait_alu 0xfffd
	v_subrev_co_ci_u32_e64 v11, s2, s19, v11, vcc_lo
	v_add_co_u32 v12, s2, v2, 2
	s_wait_alu 0xf1ff
	v_add_co_ci_u32_e64 v13, s2, 0, v6, s2
	v_sub_co_u32 v14, s2, v9, s18
	v_sub_co_ci_u32_e32 v10, vcc_lo, v8, v10, vcc_lo
	s_wait_alu 0xf1ff
	v_subrev_co_ci_u32_e64 v11, s2, 0, v11, s2
	s_delay_alu instid0(VALU_DEP_3) | instskip(NEXT) | instid1(VALU_DEP_3)
	v_cmp_le_u32_e32 vcc_lo, s18, v14
	v_cmp_eq_u32_e64 s2, s19, v10
	s_wait_alu 0xfffd
	v_cndmask_b32_e64 v14, 0, -1, vcc_lo
	v_cmp_le_u32_e32 vcc_lo, s19, v11
	s_wait_alu 0xfffd
	v_cndmask_b32_e64 v15, 0, -1, vcc_lo
	v_cmp_le_u32_e32 vcc_lo, s18, v9
	;; [unrolled: 3-line block ×3, first 2 shown]
	s_wait_alu 0xfffd
	v_cndmask_b32_e64 v16, 0, -1, vcc_lo
	v_cmp_eq_u32_e32 vcc_lo, s19, v11
	s_wait_alu 0xf1ff
	s_delay_alu instid0(VALU_DEP_2)
	v_cndmask_b32_e64 v9, v16, v9, s2
	s_wait_alu 0xfffd
	v_cndmask_b32_e32 v11, v15, v14, vcc_lo
	v_add_co_u32 v14, vcc_lo, v2, 1
	s_wait_alu 0xfffd
	v_add_co_ci_u32_e32 v15, vcc_lo, 0, v6, vcc_lo
	s_delay_alu instid0(VALU_DEP_3) | instskip(SKIP_1) | instid1(VALU_DEP_2)
	v_cmp_ne_u32_e32 vcc_lo, 0, v11
	s_wait_alu 0xfffd
	v_dual_cndmask_b32 v10, v15, v13 :: v_dual_cndmask_b32 v11, v14, v12
	v_cmp_ne_u32_e32 vcc_lo, 0, v9
	s_wait_alu 0xfffd
	s_delay_alu instid0(VALU_DEP_2) | instskip(NEXT) | instid1(VALU_DEP_3)
	v_cndmask_b32_e32 v10, v6, v10, vcc_lo
	v_cndmask_b32_e32 v9, v2, v11, vcc_lo
.LBB0_4:                                ;   in Loop: Header=BB0_2 Depth=1
	s_wait_alu 0xfffe
	s_and_not1_saveexec_b32 s2, s20
	s_cbranch_execz .LBB0_6
; %bb.5:                                ;   in Loop: Header=BB0_2 Depth=1
	v_cvt_f32_u32_e32 v2, s18
	s_sub_co_i32 s20, 0, s18
	s_delay_alu instid0(VALU_DEP_1) | instskip(NEXT) | instid1(TRANS32_DEP_1)
	v_rcp_iflag_f32_e32 v2, v2
	v_mul_f32_e32 v2, 0x4f7ffffe, v2
	s_delay_alu instid0(VALU_DEP_1) | instskip(SKIP_1) | instid1(VALU_DEP_1)
	v_cvt_u32_f32_e32 v2, v2
	s_wait_alu 0xfffe
	v_mul_lo_u32 v6, s20, v2
	s_delay_alu instid0(VALU_DEP_1) | instskip(NEXT) | instid1(VALU_DEP_1)
	v_mul_hi_u32 v6, v2, v6
	v_add_nc_u32_e32 v2, v2, v6
	s_delay_alu instid0(VALU_DEP_1) | instskip(NEXT) | instid1(VALU_DEP_1)
	v_mul_hi_u32 v2, v7, v2
	v_mul_lo_u32 v6, v2, s18
	v_add_nc_u32_e32 v9, 1, v2
	s_delay_alu instid0(VALU_DEP_2) | instskip(NEXT) | instid1(VALU_DEP_1)
	v_sub_nc_u32_e32 v6, v7, v6
	v_subrev_nc_u32_e32 v10, s18, v6
	v_cmp_le_u32_e32 vcc_lo, s18, v6
	s_wait_alu 0xfffd
	s_delay_alu instid0(VALU_DEP_2) | instskip(SKIP_2) | instid1(VALU_DEP_3)
	v_cndmask_b32_e32 v6, v6, v10, vcc_lo
	v_mov_b32_e32 v10, v5
	v_cndmask_b32_e32 v2, v2, v9, vcc_lo
	v_cmp_le_u32_e32 vcc_lo, s18, v6
	s_delay_alu instid0(VALU_DEP_2) | instskip(SKIP_1) | instid1(VALU_DEP_1)
	v_add_nc_u32_e32 v9, 1, v2
	s_wait_alu 0xfffd
	v_cndmask_b32_e32 v9, v2, v9, vcc_lo
.LBB0_6:                                ;   in Loop: Header=BB0_2 Depth=1
	s_wait_alu 0xfffe
	s_or_b32 exec_lo, exec_lo, s2
	s_load_b64 s[20:21], s[12:13], 0x0
	v_mul_lo_u32 v2, v10, s18
	v_mul_lo_u32 v6, v9, s19
	v_mad_co_u64_u32 v[11:12], null, v9, s18, 0
	s_add_nc_u64 s[14:15], s[14:15], 1
	s_add_nc_u64 s[12:13], s[12:13], 8
	s_wait_alu 0xfffe
	v_cmp_ge_u64_e64 s2, s[14:15], s[6:7]
	s_add_nc_u64 s[16:17], s[16:17], 8
	s_delay_alu instid0(VALU_DEP_2) | instskip(NEXT) | instid1(VALU_DEP_3)
	v_add3_u32 v2, v12, v6, v2
	v_sub_co_u32 v6, vcc_lo, v7, v11
	s_wait_alu 0xfffd
	s_delay_alu instid0(VALU_DEP_2) | instskip(SKIP_3) | instid1(VALU_DEP_2)
	v_sub_co_ci_u32_e32 v2, vcc_lo, v8, v2, vcc_lo
	s_and_b32 vcc_lo, exec_lo, s2
	s_wait_kmcnt 0x0
	v_mul_lo_u32 v7, s21, v6
	v_mul_lo_u32 v2, s20, v2
	v_mad_co_u64_u32 v[3:4], null, s20, v6, v[3:4]
	s_delay_alu instid0(VALU_DEP_1)
	v_add3_u32 v4, v7, v4, v2
	s_wait_alu 0xfffe
	s_cbranch_vccnz .LBB0_8
; %bb.7:                                ;   in Loop: Header=BB0_2 Depth=1
	v_dual_mov_b32 v7, v9 :: v_dual_mov_b32 v8, v10
	s_branch .LBB0_2
.LBB0_8:
	s_lshl_b64 s[2:3], s[6:7], 3
	v_mul_hi_u32 v2, 0xcccccccd, v1
	s_wait_alu 0xfffe
	s_add_nc_u64 s[2:3], s[10:11], s[2:3]
	s_load_b64 s[0:1], s[0:1], 0x20
	s_load_b64 s[2:3], s[2:3], 0x0
	v_mul_hi_u32 v5, 0xba2e8bb, v0
	s_delay_alu instid0(VALU_DEP_2) | instskip(NEXT) | instid1(VALU_DEP_1)
	v_lshrrev_b32_e32 v2, 2, v2
	v_lshl_add_u32 v2, v2, 2, v2
	s_delay_alu instid0(VALU_DEP_1) | instskip(NEXT) | instid1(VALU_DEP_4)
	v_sub_nc_u32_e32 v1, v1, v2
	v_mul_u32_u24_e32 v2, 22, v5
	s_wait_kmcnt 0x0
	v_cmp_gt_u64_e32 vcc_lo, s[0:1], v[9:10]
	v_mul_lo_u32 v6, s2, v10
	v_mul_lo_u32 v7, s3, v9
	v_mad_co_u64_u32 v[3:4], null, s2, v9, v[3:4]
	v_mul_u32_u24_e32 v15, 0x9a, v1
	v_sub_nc_u32_e32 v2, v0, v2
	s_delay_alu instid0(VALU_DEP_2) | instskip(NEXT) | instid1(VALU_DEP_4)
	v_lshlrev_b32_e32 v19, 2, v15
	v_add3_u32 v4, v7, v4, v6
	s_delay_alu instid0(VALU_DEP_1) | instskip(NEXT) | instid1(VALU_DEP_4)
	v_lshlrev_b64_e32 v[0:1], 2, v[3:4]
	v_lshlrev_b32_e32 v4, 2, v2
	s_and_saveexec_b32 s1, vcc_lo
	s_cbranch_execz .LBB0_10
; %bb.9:
	v_mov_b32_e32 v3, 0
	s_delay_alu instid0(VALU_DEP_1) | instskip(SKIP_3) | instid1(VALU_DEP_2)
	v_lshlrev_b64_e32 v[5:6], 2, v[2:3]
	v_add_co_u32 v3, s0, s8, v0
	s_wait_alu 0xf1ff
	v_add_co_ci_u32_e64 v7, s0, s9, v1, s0
	v_add_co_u32 v5, s0, v3, v5
	s_wait_alu 0xf1ff
	s_delay_alu instid0(VALU_DEP_2)
	v_add_co_ci_u32_e64 v6, s0, v7, v6, s0
	s_clause 0x6
	global_load_b32 v3, v[5:6], off
	global_load_b32 v7, v[5:6], off offset:88
	global_load_b32 v8, v[5:6], off offset:176
	;; [unrolled: 1-line block ×6, first 2 shown]
	v_add3_u32 v6, 0, v19, v4
	s_wait_loadcnt 0x5
	ds_store_2addr_b32 v6, v3, v7 offset1:22
	s_wait_loadcnt 0x3
	ds_store_2addr_b32 v6, v8, v9 offset0:44 offset1:66
	s_wait_loadcnt 0x1
	ds_store_2addr_b32 v6, v10, v11 offset0:88 offset1:110
	s_wait_loadcnt 0x0
	ds_store_b32 v6, v5 offset:528
.LBB0_10:
	s_wait_alu 0xfffe
	s_or_b32 exec_lo, exec_lo, s1
	v_add_nc_u32_e32 v17, 0, v4
	v_add3_u32 v14, 0, v19, v4
	global_wb scope:SCOPE_SE
	s_wait_dscnt 0x0
	s_barrier_signal -1
	s_barrier_wait -1
	v_add_nc_u32_e32 v16, v17, v19
	global_inv scope:SCOPE_SE
	s_mov_b32 s1, exec_lo
	ds_load_b32 v22, v14
	ds_load_2addr_b32 v[12:13], v16 offset0:14 offset1:28
	ds_load_2addr_b32 v[10:11], v16 offset0:42 offset1:56
	;; [unrolled: 1-line block ×5, first 2 shown]
	global_wb scope:SCOPE_SE
	s_wait_dscnt 0x0
	s_barrier_signal -1
	s_barrier_wait -1
	global_inv scope:SCOPE_SE
	v_lshrrev_b32_e32 v31, 16, v22
	v_lshrrev_b32_e32 v35, 16, v12
	;; [unrolled: 1-line block ×7, first 2 shown]
	v_sub_f16_e32 v45, v12, v4
	v_add_f16_e32 v29, v4, v12
	v_sub_f16_e32 v47, v13, v3
	v_sub_f16_e32 v50, v35, v20
	v_add_f16_e32 v40, v20, v35
	v_mul_f16_e32 v60, 0xba0c, v45
	v_sub_f16_e32 v49, v34, v21
	v_add_f16_e32 v32, v3, v13
	v_mul_f16_e32 v56, 0xba0c, v50
	;; [unrolled: 3-line block ×3, first 2 shown]
	v_sub_f16_e32 v48, v33, v23
	v_fma_f16 v5, v40, 0xb93d, -v60
	v_mul_f16_e32 v54, 0x3beb, v49
	v_fmamk_f16 v18, v29, 0xb93d, v56
	v_lshrrev_b32_e32 v30, 16, v11
	v_lshrrev_b32_e32 v24, 16, v6
	v_add_f16_e32 v26, v7, v10
	v_add_f16_e32 v38, v23, v33
	v_mul_f16_e32 v55, 0xb853, v42
	v_fma_f16 v36, v39, 0xb08e, -v58
	v_mul_f16_e32 v53, 0xb853, v48
	v_add_f16_e32 v5, v5, v31
	v_fmamk_f16 v37, v32, 0xb08e, v54
	v_add_f16_e32 v18, v18, v22
	v_lshrrev_b32_e32 v27, 16, v8
	v_lshrrev_b32_e32 v25, 16, v9
	v_sub_f16_e32 v43, v11, v6
	v_sub_f16_e32 v44, v30, v24
	v_fma_f16 v46, v38, 0x3abb, -v55
	v_fmamk_f16 v51, v26, 0x3abb, v53
	v_add_f16_e32 v5, v36, v5
	v_add_f16_e32 v18, v37, v18
	;; [unrolled: 1-line block ×3, first 2 shown]
	v_mul_f16_e32 v52, 0xb482, v44
	v_add_f16_e32 v41, v24, v30
	v_mul_f16_e32 v59, 0xb482, v43
	v_add_f16_e32 v5, v46, v5
	v_add_f16_e32 v18, v51, v18
	v_sub_f16_e32 v46, v27, v25
	v_sub_f16_e32 v51, v8, v9
	v_fmamk_f16 v62, v28, 0xbbad, v52
	v_fma_f16 v63, v41, 0xbbad, -v59
	v_add_f16_e32 v36, v9, v8
	v_add_f16_e32 v37, v25, v27
	v_mul_f16_e32 v57, 0x3b47, v46
	v_mul_f16_e32 v61, 0x3b47, v51
	v_add_f16_e32 v18, v62, v18
	v_add_f16_e32 v62, v63, v5
	s_delay_alu instid0(VALU_DEP_4) | instskip(NEXT) | instid1(VALU_DEP_4)
	v_fmamk_f16 v5, v36, 0x36a6, v57
	v_fma_f16 v63, v37, 0x36a6, -v61
	s_delay_alu instid0(VALU_DEP_2) | instskip(NEXT) | instid1(VALU_DEP_2)
	v_add_f16_e32 v5, v5, v18
	v_add_f16_e32 v18, v63, v62
	v_cmpx_gt_u32_e32 14, v2
	s_cbranch_execz .LBB0_12
; %bb.11:
	v_perm_b32 v62, v50, v40, 0x5040100
	v_perm_b32 v66, v29, v45, 0x5040100
	;; [unrolled: 1-line block ×3, first 2 shown]
	v_alignbit_b32 v63, v22, v22, 16
	v_mul_f16_e32 v65, 0xb93d, v40
	v_pk_mul_f16 v62, 0xb482bbad, v62
	v_perm_b32 v72, v32, v47, 0x5040100
	v_pk_mul_f16 v67, 0x38533abb, v67
	v_perm_b32 v73, v48, v38, 0x5040100
	v_mul_f16_e32 v69, 0xb08e, v39
	v_pk_fma_f16 v71, 0xbbadb482, v66, v62 neg_lo:[0,1,0] neg_hi:[0,1,0]
	v_perm_b32 v77, v26, v42, 0x5040100
	v_pk_fma_f16 v76, 0x3abb3853, v72, v67 neg_lo:[0,1,0] neg_hi:[0,1,0]
	v_pk_mul_f16 v73, 0xba0cb93d, v73
	v_pk_fma_f16 v82, 0xbbadb482, v66, v62 neg_lo:[0,0,1] neg_hi:[0,0,1]
	v_pk_add_f16 v71, v71, v63
	v_add_f16_e32 v60, v60, v65
	v_mul_f16_e32 v64, 0xb93d, v29
	v_mul_f16_e32 v74, 0x3abb, v38
	v_perm_b32 v80, v44, v41, 0x5040100
	v_pk_add_f16 v71, v76, v71
	v_pk_fma_f16 v76, 0xb93dba0c, v77, v73 neg_lo:[0,1,0] neg_hi:[0,1,0]
	v_pk_add_f16 v82, v82, v63
	v_pk_fma_f16 v84, 0x3abb3853, v72, v67 neg_lo:[0,0,1] neg_hi:[0,0,1]
	v_add_f16_e32 v60, v60, v31
	v_add_f16_e32 v58, v58, v69
	v_mul_f16_e32 v68, 0xb08e, v32
	v_mul_f16_e32 v78, 0xbbad, v41
	v_pk_mul_f16 v80, 0x3b4736a6, v80
	v_perm_b32 v83, v28, v43, 0x5040100
	v_pk_add_f16 v71, v76, v71
	v_perm_b32 v76, v46, v37, 0x5040100
	v_pk_add_f16 v82, v84, v82
	v_pk_fma_f16 v84, 0xb93dba0c, v77, v73 neg_lo:[0,0,1] neg_hi:[0,0,1]
	v_sub_f16_e32 v56, v64, v56
	v_add_f16_e32 v58, v58, v60
	v_add_f16_e32 v55, v55, v74
	v_mul_f16_e32 v70, 0x3abb, v26
	v_mul_f16_e32 v81, 0x36a6, v37
	v_pk_mul_f16 v65, 0xbbebb08e, v76
	v_perm_b32 v76, v36, v51, 0x5040100
	v_pk_add_f16 v64, v84, v82
	v_pk_fma_f16 v60, 0x36a63b47, v83, v80 neg_lo:[0,0,1] neg_hi:[0,0,1]
	v_add_f16_e32 v56, v56, v22
	v_sub_f16_e32 v54, v68, v54
	v_add_f16_e32 v55, v55, v58
	v_add_f16_e32 v58, v59, v78
	v_pk_add_f16 v59, v60, v64
	v_sub_f16_e32 v53, v70, v53
	v_add_f16_e32 v54, v54, v56
	v_pk_fma_f16 v56, 0xb08ebbeb, v76, v65 neg_lo:[0,0,1] neg_hi:[0,0,1]
	v_add_f16_e32 v55, v58, v55
	v_add_f16_e32 v58, v61, v81
	v_mul_f16_e32 v60, 0xbbeb, v45
	v_pk_fma_f16 v85, 0x36a63b47, v83, v80 neg_lo:[0,1,0] neg_hi:[0,1,0]
	v_add_f16_e32 v53, v53, v54
	v_pk_add_f16 v54, v56, v59
	v_add_f16_e32 v55, v58, v55
	v_fmamk_f16 v56, v40, 0xb08e, v60
	v_mul_f16_e32 v58, 0x3482, v47
	v_mul_f16_e32 v75, 0xbbad, v28
	v_pk_add_f16 v69, v85, v71
	v_pk_fma_f16 v71, 0xb08ebbeb, v76, v65 neg_lo:[0,1,0] neg_hi:[0,1,0]
	v_add_f16_e32 v56, v56, v31
	v_fmamk_f16 v59, v39, 0xbbad, v58
	v_mul_f16_e32 v61, 0x3b47, v42
	v_mul_f16_e32 v79, 0x36a6, v36
	v_sub_f16_e32 v52, v75, v52
	v_pk_add_f16 v68, v71, v69
	v_add_f16_e32 v56, v59, v56
	v_fmamk_f16 v59, v38, 0x36a6, v61
	v_mul_f16_e32 v69, 0xb853, v43
	v_add_f16_e32 v52, v52, v53
	v_sub_f16_e32 v53, v79, v57
	v_mul_f16_e32 v57, 0xbbeb, v50
	v_add_f16_e32 v56, v59, v56
	v_fmamk_f16 v59, v41, 0x3abb, v69
	v_mul_f16_e32 v74, 0xba0c, v51
	v_add_f16_e32 v52, v53, v52
	v_fma_f16 v53, v29, 0xb08e, -v57
	v_mul_f16_e32 v64, 0x3482, v49
	v_add_f16_e32 v56, v59, v56
	v_fmamk_f16 v59, v37, 0xb93d, v74
	v_mul_f16_e32 v78, 0xbb47, v45
	v_add_f16_e32 v53, v53, v22
	v_fma_f16 v70, v32, 0xbbad, -v64
	;; [unrolled: 6-line block ×5, first 2 shown]
	v_mul_f16_e32 v82, 0xbb47, v50
	v_add_f16_e32 v12, v12, v22
	v_add_f16_e32 v59, v84, v59
	v_fmamk_f16 v84, v41, 0xb08e, v87
	v_mul_f16_e32 v90, 0x3853, v51
	v_add_f16_e32 v35, v35, v31
	v_add_f16_e32 v53, v70, v53
	v_fma_f16 v70, v29, 0x36a6, -v82
	v_mul_f16_e32 v86, 0xba0c, v49
	v_add_f16_e32 v12, v12, v13
	v_add_f16_e32 v59, v84, v59
	v_fmamk_f16 v84, v37, 0x3abb, v90
	v_mul_f16_e32 v45, 0xb853, v45
	v_fmac_f16_e32 v57, 0xb08e, v29
	v_add_f16_e32 v34, v35, v34
	v_add_f16_e32 v70, v70, v22
	v_fma_f16 v88, v32, 0xb93d, -v86
	v_mul_f16_e32 v89, 0x3482, v48
	v_add_f16_e32 v10, v12, v10
	v_add_f16_e32 v59, v84, v59
	v_fmamk_f16 v84, v40, 0x3abb, v45
	v_mul_f16_e32 v47, 0xbb47, v47
	v_fma_f16 v60, v40, 0xb08e, -v60
	v_add_f16_e32 v57, v57, v22
	v_fmac_f16_e32 v64, 0xbbad, v32
	v_fma_f16 v78, v40, 0x36a6, -v78
	v_fma_f16 v40, v40, 0x3abb, -v45
	v_add_f16_e32 v33, v34, v33
	v_add_f16_e32 v70, v88, v70
	v_fma_f16 v88, v26, 0xbbad, -v89
	v_mul_f16_e32 v91, 0x3beb, v44
	v_add_f16_e32 v10, v10, v11
	v_add_f16_e32 v84, v84, v31
	v_mul_f16_e32 v42, 0xbbeb, v42
	v_add_f16_e32 v60, v60, v31
	v_add_f16_e32 v57, v64, v57
	;; [unrolled: 1-line block ×4, first 2 shown]
	v_fma_f16 v12, v39, 0x36a6, -v47
	v_add_f16_e32 v30, v33, v30
	v_add_f16_e32 v70, v88, v70
	v_fma_f16 v88, v28, 0xb08e, -v91
	v_mul_f16_e32 v92, 0x3853, v46
	v_add_f16_e32 v8, v10, v8
	v_mul_f16_e32 v43, 0xba0c, v43
	v_fma_f16 v58, v39, 0xbbad, -v58
	v_add_f16_e32 v11, v12, v31
	v_fma_f16 v12, v38, 0xb08e, -v42
	v_add_f16_e32 v27, v30, v27
	v_add_f16_e32 v70, v88, v70
	v_fma_f16 v88, v36, 0x3abb, -v92
	v_mul_f16_e32 v50, 0xb853, v50
	v_add_f16_e32 v8, v8, v9
	v_add_f16_e32 v58, v58, v60
	v_fma_f16 v60, v38, 0x36a6, -v61
	v_add_f16_e32 v10, v12, v11
	v_fma_f16 v11, v41, 0xb93d, -v43
	v_add_f16_e32 v12, v27, v25
	v_add_f16_e32 v70, v88, v70
	v_fma_f16 v88, v29, 0x3abb, -v50
	v_mul_f16_e32 v49, 0xbb47, v49
	v_add_f16_e32 v6, v8, v6
	v_pk_fma_f16 v8, 0xbbadb482, v66, v62
	v_add_f16_e32 v58, v60, v58
	v_fma_f16 v60, v41, 0x3abb, -v69
	v_fmac_f16_e32 v71, 0x36a6, v26
	v_fma_f16 v69, v39, 0xb93d, -v81
	v_fmac_f16_e32 v82, 0x36a6, v29
	v_fmac_f16_e32 v50, 0x3abb, v29
	v_add_f16_e32 v10, v11, v10
	v_add_f16_e32 v11, v12, v24
	v_fmamk_f16 v93, v39, 0x36a6, v47
	v_add_f16_e32 v88, v88, v22
	v_fma_f16 v94, v32, 0x36a6, -v49
	v_mul_f16_e32 v48, 0xbbeb, v48
	v_add_f16_e32 v6, v6, v7
	v_pk_add_f16 v7, v8, v63
	v_pk_fma_f16 v8, 0x3abb3853, v72, v67
	v_add_f16_e32 v58, v60, v58
	v_add_f16_e32 v57, v71, v57
	;; [unrolled: 1-line block ×3, first 2 shown]
	v_fma_f16 v69, v37, 0xb93d, -v74
	v_add_f16_e32 v71, v82, v22
	v_fmac_f16_e32 v86, 0xb93d, v32
	v_add_f16_e32 v9, v50, v22
	v_fmac_f16_e32 v49, 0x36a6, v32
	v_add_f16_e32 v11, v11, v23
	v_add_f16_e32 v84, v93, v84
	v_fmamk_f16 v93, v38, 0xb08e, v42
	v_add_f16_e32 v88, v94, v88
	v_fma_f16 v94, v26, 0xb08e, -v48
	v_mul_f16_e32 v44, 0xba0c, v44
	v_add_f16_e32 v3, v6, v3
	v_pk_add_f16 v6, v8, v7
	v_pk_fma_f16 v7, 0xb93dba0c, v77, v73
	v_fma_f16 v64, v38, 0xbbad, -v85
	v_add_f16_e32 v58, v69, v58
	v_add_f16_e32 v69, v86, v71
	v_fmac_f16_e32 v89, 0xbbad, v26
	v_add_f16_e32 v9, v49, v9
	v_fmac_f16_e32 v48, 0xb08e, v26
	v_add_f16_e32 v11, v11, v21
	v_add_f16_e32 v84, v93, v84
	v_fmamk_f16 v93, v41, 0xb93d, v43
	v_mul_f16_e32 v51, 0xb482, v51
	v_add_f16_e32 v88, v94, v88
	v_fma_f16 v94, v28, 0xb93d, -v44
	v_mul_f16_e32 v46, 0xb482, v46
	v_add_f16_e32 v3, v3, v4
	v_pk_add_f16 v4, v7, v6
	v_pk_fma_f16 v6, 0x36a63b47, v83, v80
	v_fmac_f16_e32 v75, 0x3abb, v28
	v_add_f16_e32 v60, v64, v60
	v_fma_f16 v64, v41, 0xb08e, -v87
	v_add_f16_e32 v13, v89, v69
	v_fmac_f16_e32 v91, 0xb08e, v28
	v_add_f16_e32 v9, v48, v9
	v_fmac_f16_e32 v44, 0xb93d, v28
	v_add_f16_e32 v11, v11, v20
	v_add_f16_e32 v84, v93, v84
	v_fmamk_f16 v93, v37, 0xbbad, v51
	v_add_f16_e32 v88, v94, v88
	v_fma_f16 v61, v36, 0xbbad, -v46
	v_pk_add_f16 v4, v6, v4
	v_pk_fma_f16 v6, 0xb08ebbeb, v76, v65
	v_add_f16_e32 v57, v75, v57
	v_fmac_f16_e32 v79, 0xb93d, v36
	v_add_f16_e32 v60, v64, v60
	v_fma_f16 v64, v37, 0x3abb, -v90
	v_add_f16_e32 v13, v91, v13
	v_fmac_f16_e32 v92, 0x3abb, v36
	v_fma_f16 v8, v37, 0xbbad, -v51
	v_add_f16_e32 v9, v44, v9
	v_fmac_f16_e32 v46, 0xbbad, v36
	v_lshlrev_b32_e32 v7, 16, v11
	v_and_b32_e32 v3, 0xffff, v3
	v_mul_u32_u24_e32 v11, 40, v2
	v_add_f16_e32 v84, v93, v84
	v_add_f16_e32 v61, v61, v88
	v_pk_add_f16 v4, v6, v4
	v_add_f16_e32 v57, v79, v57
	v_add_f16_e32 v60, v64, v60
	;; [unrolled: 1-line block ×5, first 2 shown]
	v_or_b32_e32 v3, v7, v3
	v_add3_u32 v7, v17, v11, v19
	v_pack_b32_f16 v6, v70, v59
	v_pack_b32_f16 v10, v61, v84
	;; [unrolled: 1-line block ×4, first 2 shown]
	v_alignbit_b32 v20, v68, v4, 16
	v_alignbit_b32 v4, v4, v54, 16
	v_pack_b32_f16 v21, v57, v58
	v_perm_b32 v22, v18, v5, 0x5040100
	v_pack_b32_f16 v8, v9, v8
	v_pack_b32_f16 v9, v13, v60
	ds_store_b32 v7, v3
	ds_store_2addr_b32 v7, v10, v6 offset0:1 offset1:2
	ds_store_2addr_b32 v7, v12, v11 offset0:3 offset1:4
	;; [unrolled: 1-line block ×5, first 2 shown]
.LBB0_12:
	s_wait_alu 0xfffe
	s_or_b32 exec_lo, exec_lo, s1
	v_add_nc_u32_e32 v6, -11, v2
	v_cmp_gt_u32_e64 s0, 11, v2
	global_wb scope:SCOPE_SE
	s_wait_dscnt 0x0
	s_barrier_signal -1
	s_barrier_wait -1
	global_inv scope:SCOPE_SE
	s_wait_alu 0xf1ff
	v_cndmask_b32_e64 v13, v6, v2, s0
	v_mov_b32_e32 v8, 0
	s_delay_alu instid0(VALU_DEP_2) | instskip(SKIP_1) | instid1(VALU_DEP_2)
	v_mul_i32_i24_e32 v7, 6, v13
	v_lshlrev_b32_e32 v13, 2, v13
	v_lshlrev_b64_e32 v[3:4], 2, v[7:8]
	s_delay_alu instid0(VALU_DEP_1) | instskip(SKIP_1) | instid1(VALU_DEP_2)
	v_add_co_u32 v3, s1, s4, v3
	s_wait_alu 0xf1ff
	v_add_co_ci_u32_e64 v4, s1, s5, v4, s1
	v_cmp_lt_u32_e64 s1, 10, v2
	s_clause 0x1
	global_load_b128 v[9:12], v[3:4], off
	global_load_b64 v[3:4], v[3:4], off offset:16
	ds_load_2addr_b32 v[20:21], v16 offset0:22 offset1:44
	ds_load_2addr_b32 v[22:23], v16 offset0:66 offset1:88
	;; [unrolled: 1-line block ×3, first 2 shown]
	ds_load_b32 v7, v14
	s_wait_alu 0xf1ff
	v_cndmask_b32_e64 v26, 0, 0x134, s1
	global_wb scope:SCOPE_SE
	s_wait_loadcnt_dscnt 0x0
	s_barrier_signal -1
	s_barrier_wait -1
	global_inv scope:SCOPE_SE
	v_add_nc_u32_e32 v26, 0, v26
	s_delay_alu instid0(VALU_DEP_1)
	v_add3_u32 v19, v26, v13, v19
	v_lshrrev_b32_e32 v13, 16, v20
	v_lshrrev_b32_e32 v26, 16, v21
	;; [unrolled: 1-line block ×13, first 2 shown]
	v_mul_f16_e32 v38, v32, v13
	v_mul_f16_e32 v32, v32, v20
	;; [unrolled: 1-line block ×12, first 2 shown]
	v_fma_f16 v20, v9, v20, -v38
	v_fmac_f16_e32 v32, v9, v13
	v_fma_f16 v9, v10, v21, -v39
	v_fmac_f16_e32 v33, v10, v26
	;; [unrolled: 2-line block ×6, first 2 shown]
	v_add_f16_e32 v3, v20, v13
	v_add_f16_e32 v12, v32, v37
	;; [unrolled: 1-line block ×4, first 2 shown]
	v_sub_f16_e32 v13, v20, v13
	v_sub_f16_e32 v4, v9, v4
	;; [unrolled: 1-line block ×3, first 2 shown]
	v_add_f16_e32 v23, v10, v11
	v_add_f16_e32 v24, v34, v35
	v_sub_f16_e32 v10, v11, v10
	v_sub_f16_e32 v11, v35, v34
	v_add_f16_e32 v25, v21, v3
	v_add_f16_e32 v26, v22, v12
	v_sub_f16_e32 v20, v32, v37
	v_sub_f16_e32 v27, v21, v3
	;; [unrolled: 1-line block ×7, first 2 shown]
	v_add_f16_e32 v29, v10, v4
	v_add_f16_e32 v30, v11, v9
	v_sub_f16_e32 v32, v10, v4
	v_sub_f16_e32 v33, v11, v9
	;; [unrolled: 1-line block ×3, first 2 shown]
	v_add_f16_e32 v23, v23, v25
	v_add_f16_e32 v24, v24, v26
	v_sub_f16_e32 v9, v9, v20
	v_sub_f16_e32 v10, v13, v10
	;; [unrolled: 1-line block ×3, first 2 shown]
	v_add_f16_e32 v13, v29, v13
	v_add_f16_e32 v20, v30, v20
	v_mul_f16_e32 v3, 0x3a52, v3
	v_mul_f16_e32 v12, 0x3a52, v12
	;; [unrolled: 1-line block ×7, first 2 shown]
	v_add_f16_e32 v7, v23, v7
	v_add_f16_e32 v31, v24, v31
	v_mul_f16_e32 v33, 0x3b00, v9
	v_fmamk_f16 v21, v21, 0x2b26, v3
	v_fmamk_f16 v22, v22, 0x2b26, v12
	v_fma_f16 v25, v27, 0x39e0, -v25
	v_fma_f16 v26, v28, 0x39e0, -v26
	;; [unrolled: 1-line block ×4, first 2 shown]
	v_fmamk_f16 v27, v10, 0x3574, v29
	v_fmamk_f16 v28, v11, 0x3574, v30
	v_fma_f16 v4, v4, 0x3b00, -v29
	v_fma_f16 v9, v9, 0x3b00, -v30
	;; [unrolled: 1-line block ×3, first 2 shown]
	v_lshlrev_b32_e32 v29, 16, v31
	v_and_b32_e32 v30, 0xffff, v7
	v_fmac_f16_e32 v7, 0xbcab, v23
	v_fmac_f16_e32 v31, 0xbcab, v24
	v_fma_f16 v11, v11, 0xb574, -v33
	v_fmac_f16_e32 v27, 0x370e, v13
	v_fmac_f16_e32 v28, 0x370e, v20
	;; [unrolled: 1-line block ×4, first 2 shown]
	v_add_f16_e32 v13, v21, v7
	v_add_f16_e32 v21, v22, v31
	v_fmac_f16_e32 v9, 0x370e, v20
	v_fmac_f16_e32 v11, 0x370e, v20
	v_add_f16_e32 v22, v25, v7
	v_add_f16_e32 v3, v3, v7
	;; [unrolled: 1-line block ×5, first 2 shown]
	v_sub_f16_e32 v24, v21, v27
	v_or_b32_e32 v20, v29, v30
	v_add_f16_e32 v25, v11, v3
	v_sub_f16_e32 v26, v7, v10
	v_sub_f16_e32 v29, v22, v9
	v_add_f16_e32 v30, v4, v12
	v_add_f16_e32 v9, v9, v22
	v_sub_f16_e32 v12, v12, v4
	v_sub_f16_e32 v3, v3, v11
	v_add_f16_e32 v7, v10, v7
	v_sub_f16_e32 v4, v13, v28
	v_add_f16_e32 v13, v27, v21
	v_pack_b32_f16 v10, v23, v24
	v_pack_b32_f16 v11, v25, v26
	;; [unrolled: 1-line block ×6, first 2 shown]
	ds_store_2addr_b32 v19, v20, v10 offset1:11
	ds_store_2addr_b32 v19, v11, v21 offset0:22 offset1:33
	ds_store_2addr_b32 v19, v9, v3 offset0:44 offset1:55
	ds_store_b32 v19, v7 offset:264
	global_wb scope:SCOPE_SE
	s_wait_dscnt 0x0
	s_barrier_signal -1
	s_barrier_wait -1
	global_inv scope:SCOPE_SE
	ds_load_2addr_b32 v[11:12], v16 offset0:77 offset1:99
	ds_load_2addr_b32 v[9:10], v16 offset0:22 offset1:44
	ds_load_b32 v7, v14
	ds_load_b32 v19, v16 offset:484
	s_and_saveexec_b32 s1, s0
	s_cbranch_execz .LBB0_14
; %bb.13:
	ds_load_2addr_b32 v[4:5], v16 offset0:66 offset1:143
	v_add_nc_u32_e32 v6, 0x42, v2
	s_wait_dscnt 0x0
	v_lshrrev_b32_e32 v13, 16, v4
	v_lshrrev_b32_e32 v18, 16, v5
.LBB0_14:
	s_wait_alu 0xfffe
	s_or_b32 exec_lo, exec_lo, s1
	v_mov_b32_e32 v3, v8
	v_lshl_add_u32 v15, v15, 2, v17
	s_delay_alu instid0(VALU_DEP_2) | instskip(NEXT) | instid1(VALU_DEP_1)
	v_lshlrev_b64_e32 v[2:3], 2, v[2:3]
	v_add_co_u32 v20, s1, s4, v2
	s_wait_alu 0xf1ff
	s_delay_alu instid0(VALU_DEP_2)
	v_add_co_ci_u32_e64 v21, s1, s5, v3, s1
	s_clause 0x2
	global_load_b32 v8, v[20:21], off offset:440
	global_load_b32 v22, v[20:21], off offset:264
	;; [unrolled: 1-line block ×3, first 2 shown]
	global_wb scope:SCOPE_SE
	s_wait_loadcnt_dscnt 0x0
	s_barrier_signal -1
	s_barrier_wait -1
	global_inv scope:SCOPE_SE
	v_pk_mul_f16 v21, v22, v11 op_sel:[0,1]
	s_delay_alu instid0(VALU_DEP_1) | instskip(SKIP_3) | instid1(VALU_DEP_3)
	v_pk_fma_f16 v23, v22, v11, v21 op_sel:[0,0,1] op_sel_hi:[1,1,0] neg_lo:[0,0,1] neg_hi:[0,0,1]
	v_pk_fma_f16 v11, v22, v11, v21 op_sel:[0,0,1] op_sel_hi:[1,0,0]
	v_pk_mul_f16 v21, v20, v12 op_sel:[0,1]
	v_pk_mul_f16 v22, v8, v19 op_sel:[0,1]
	v_bfi_b32 v11, 0xffff, v23, v11
	s_delay_alu instid0(VALU_DEP_3) | instskip(SKIP_1) | instid1(VALU_DEP_4)
	v_pk_fma_f16 v23, v20, v12, v21 op_sel:[0,0,1] op_sel_hi:[1,1,0] neg_lo:[0,0,1] neg_hi:[0,0,1]
	v_pk_fma_f16 v12, v20, v12, v21 op_sel:[0,0,1] op_sel_hi:[1,0,0]
	v_pk_fma_f16 v20, v8, v19, v22 op_sel:[0,0,1] op_sel_hi:[1,1,0] neg_lo:[0,0,1] neg_hi:[0,0,1]
	v_pk_fma_f16 v8, v8, v19, v22 op_sel:[0,0,1] op_sel_hi:[1,0,0]
	v_pk_add_f16 v11, v7, v11 neg_lo:[0,1] neg_hi:[0,1]
	v_lshrrev_b32_e32 v19, 16, v7
	v_bfi_b32 v12, 0xffff, v23, v12
	s_delay_alu instid0(VALU_DEP_4) | instskip(NEXT) | instid1(VALU_DEP_4)
	v_bfi_b32 v8, 0xffff, v20, v8
	v_lshrrev_b32_e32 v21, 16, v11
	v_fma_f16 v7, v7, 2.0, -v11
	s_delay_alu instid0(VALU_DEP_4) | instskip(NEXT) | instid1(VALU_DEP_4)
	v_pk_add_f16 v12, v9, v12 neg_lo:[0,1] neg_hi:[0,1]
	v_pk_add_f16 v8, v10, v8 neg_lo:[0,1] neg_hi:[0,1]
	s_delay_alu instid0(VALU_DEP_4) | instskip(NEXT) | instid1(VALU_DEP_4)
	v_fma_f16 v19, v19, 2.0, -v21
	v_and_b32_e32 v7, 0xffff, v7
	s_delay_alu instid0(VALU_DEP_4) | instskip(NEXT) | instid1(VALU_DEP_4)
	v_pk_fma_f16 v9, v9, 2.0, v12 op_sel_hi:[1,0,1] neg_lo:[0,0,1] neg_hi:[0,0,1]
	v_pk_fma_f16 v10, v10, 2.0, v8 op_sel_hi:[1,0,1] neg_lo:[0,0,1] neg_hi:[0,0,1]
	s_delay_alu instid0(VALU_DEP_4) | instskip(NEXT) | instid1(VALU_DEP_1)
	v_lshlrev_b32_e32 v19, 16, v19
	v_or_b32_e32 v7, v19, v7
	ds_store_2addr_b32 v16, v10, v11 offset0:44 offset1:77
	ds_store_2addr_b32 v16, v7, v9 offset1:22
	ds_store_2addr_b32 v15, v12, v8 offset0:99 offset1:121
	s_and_saveexec_b32 s1, s0
	s_cbranch_execz .LBB0_16
; %bb.15:
	v_mov_b32_e32 v7, 0
	s_delay_alu instid0(VALU_DEP_1) | instskip(NEXT) | instid1(VALU_DEP_1)
	v_lshlrev_b64_e32 v[6:7], 2, v[6:7]
	v_add_co_u32 v6, s0, s4, v6
	s_wait_alu 0xf1ff
	s_delay_alu instid0(VALU_DEP_2) | instskip(SKIP_3) | instid1(VALU_DEP_1)
	v_add_co_ci_u32_e64 v7, s0, s5, v7, s0
	global_load_b32 v6, v[6:7], off offset:264
	s_wait_loadcnt 0x0
	v_lshrrev_b32_e32 v7, 16, v6
	v_mul_f16_e32 v8, v18, v7
	v_mul_f16_e32 v7, v5, v7
	s_delay_alu instid0(VALU_DEP_2) | instskip(NEXT) | instid1(VALU_DEP_2)
	v_fma_f16 v5, v5, v6, -v8
	v_fmac_f16_e32 v7, v18, v6
	s_delay_alu instid0(VALU_DEP_2) | instskip(NEXT) | instid1(VALU_DEP_2)
	v_sub_f16_e32 v5, v4, v5
	v_sub_f16_e32 v6, v13, v7
	s_delay_alu instid0(VALU_DEP_2) | instskip(NEXT) | instid1(VALU_DEP_2)
	v_fma_f16 v4, v4, 2.0, -v5
	v_fma_f16 v7, v13, 2.0, -v6
	v_pack_b32_f16 v5, v5, v6
	s_delay_alu instid0(VALU_DEP_2)
	v_pack_b32_f16 v4, v4, v7
	ds_store_2addr_b32 v16, v4, v5 offset0:66 offset1:143
.LBB0_16:
	s_wait_alu 0xfffe
	s_or_b32 exec_lo, exec_lo, s1
	global_wb scope:SCOPE_SE
	s_wait_dscnt 0x0
	s_barrier_signal -1
	s_barrier_wait -1
	global_inv scope:SCOPE_SE
	s_and_saveexec_b32 s0, vcc_lo
	s_cbranch_execz .LBB0_18
; %bb.17:
	ds_load_2addr_b32 v[4:5], v14 offset1:22
	ds_load_2addr_b32 v[6:7], v14 offset0:44 offset1:66
	ds_load_2addr_b32 v[8:9], v14 offset0:88 offset1:110
	ds_load_b32 v10, v14 offset:528
	v_add_co_u32 v0, vcc_lo, s8, v0
	s_wait_alu 0xfffd
	v_add_co_ci_u32_e32 v1, vcc_lo, s9, v1, vcc_lo
	s_delay_alu instid0(VALU_DEP_2) | instskip(SKIP_1) | instid1(VALU_DEP_2)
	v_add_co_u32 v0, vcc_lo, v0, v2
	s_wait_alu 0xfffd
	v_add_co_ci_u32_e32 v1, vcc_lo, v1, v3, vcc_lo
	s_wait_dscnt 0x3
	s_clause 0x1
	global_store_b32 v[0:1], v4, off
	global_store_b32 v[0:1], v5, off offset:88
	s_wait_dscnt 0x2
	s_clause 0x1
	global_store_b32 v[0:1], v6, off offset:176
	global_store_b32 v[0:1], v7, off offset:264
	s_wait_dscnt 0x1
	s_clause 0x1
	global_store_b32 v[0:1], v8, off offset:352
	global_store_b32 v[0:1], v9, off offset:440
	s_wait_dscnt 0x0
	global_store_b32 v[0:1], v10, off offset:528
.LBB0_18:
	s_nop 0
	s_sendmsg sendmsg(MSG_DEALLOC_VGPRS)
	s_endpgm
	.section	.rodata,"a",@progbits
	.p2align	6, 0x0
	.amdhsa_kernel fft_rtc_fwd_len154_factors_11_7_2_wgs_110_tpt_22_half_ip_CI_unitstride_sbrr_dirReg
		.amdhsa_group_segment_fixed_size 0
		.amdhsa_private_segment_fixed_size 0
		.amdhsa_kernarg_size 88
		.amdhsa_user_sgpr_count 2
		.amdhsa_user_sgpr_dispatch_ptr 0
		.amdhsa_user_sgpr_queue_ptr 0
		.amdhsa_user_sgpr_kernarg_segment_ptr 1
		.amdhsa_user_sgpr_dispatch_id 0
		.amdhsa_user_sgpr_private_segment_size 0
		.amdhsa_wavefront_size32 1
		.amdhsa_uses_dynamic_stack 0
		.amdhsa_enable_private_segment 0
		.amdhsa_system_sgpr_workgroup_id_x 1
		.amdhsa_system_sgpr_workgroup_id_y 0
		.amdhsa_system_sgpr_workgroup_id_z 0
		.amdhsa_system_sgpr_workgroup_info 0
		.amdhsa_system_vgpr_workitem_id 0
		.amdhsa_next_free_vgpr 95
		.amdhsa_next_free_sgpr 32
		.amdhsa_reserve_vcc 1
		.amdhsa_float_round_mode_32 0
		.amdhsa_float_round_mode_16_64 0
		.amdhsa_float_denorm_mode_32 3
		.amdhsa_float_denorm_mode_16_64 3
		.amdhsa_fp16_overflow 0
		.amdhsa_workgroup_processor_mode 1
		.amdhsa_memory_ordered 1
		.amdhsa_forward_progress 0
		.amdhsa_round_robin_scheduling 0
		.amdhsa_exception_fp_ieee_invalid_op 0
		.amdhsa_exception_fp_denorm_src 0
		.amdhsa_exception_fp_ieee_div_zero 0
		.amdhsa_exception_fp_ieee_overflow 0
		.amdhsa_exception_fp_ieee_underflow 0
		.amdhsa_exception_fp_ieee_inexact 0
		.amdhsa_exception_int_div_zero 0
	.end_amdhsa_kernel
	.text
.Lfunc_end0:
	.size	fft_rtc_fwd_len154_factors_11_7_2_wgs_110_tpt_22_half_ip_CI_unitstride_sbrr_dirReg, .Lfunc_end0-fft_rtc_fwd_len154_factors_11_7_2_wgs_110_tpt_22_half_ip_CI_unitstride_sbrr_dirReg
                                        ; -- End function
	.section	.AMDGPU.csdata,"",@progbits
; Kernel info:
; codeLenInByte = 5856
; NumSgprs: 34
; NumVgprs: 95
; ScratchSize: 0
; MemoryBound: 0
; FloatMode: 240
; IeeeMode: 1
; LDSByteSize: 0 bytes/workgroup (compile time only)
; SGPRBlocks: 4
; VGPRBlocks: 11
; NumSGPRsForWavesPerEU: 34
; NumVGPRsForWavesPerEU: 95
; Occupancy: 16
; WaveLimiterHint : 1
; COMPUTE_PGM_RSRC2:SCRATCH_EN: 0
; COMPUTE_PGM_RSRC2:USER_SGPR: 2
; COMPUTE_PGM_RSRC2:TRAP_HANDLER: 0
; COMPUTE_PGM_RSRC2:TGID_X_EN: 1
; COMPUTE_PGM_RSRC2:TGID_Y_EN: 0
; COMPUTE_PGM_RSRC2:TGID_Z_EN: 0
; COMPUTE_PGM_RSRC2:TIDIG_COMP_CNT: 0
	.text
	.p2alignl 7, 3214868480
	.fill 96, 4, 3214868480
	.type	__hip_cuid_be63e29da6b3ce8a,@object ; @__hip_cuid_be63e29da6b3ce8a
	.section	.bss,"aw",@nobits
	.globl	__hip_cuid_be63e29da6b3ce8a
__hip_cuid_be63e29da6b3ce8a:
	.byte	0                               ; 0x0
	.size	__hip_cuid_be63e29da6b3ce8a, 1

	.ident	"AMD clang version 19.0.0git (https://github.com/RadeonOpenCompute/llvm-project roc-6.4.0 25133 c7fe45cf4b819c5991fe208aaa96edf142730f1d)"
	.section	".note.GNU-stack","",@progbits
	.addrsig
	.addrsig_sym __hip_cuid_be63e29da6b3ce8a
	.amdgpu_metadata
---
amdhsa.kernels:
  - .args:
      - .actual_access:  read_only
        .address_space:  global
        .offset:         0
        .size:           8
        .value_kind:     global_buffer
      - .offset:         8
        .size:           8
        .value_kind:     by_value
      - .actual_access:  read_only
        .address_space:  global
        .offset:         16
        .size:           8
        .value_kind:     global_buffer
      - .actual_access:  read_only
        .address_space:  global
        .offset:         24
        .size:           8
        .value_kind:     global_buffer
      - .offset:         32
        .size:           8
        .value_kind:     by_value
      - .actual_access:  read_only
        .address_space:  global
        .offset:         40
        .size:           8
        .value_kind:     global_buffer
      - .actual_access:  read_only
        .address_space:  global
        .offset:         48
        .size:           8
        .value_kind:     global_buffer
      - .offset:         56
        .size:           4
        .value_kind:     by_value
      - .actual_access:  read_only
        .address_space:  global
        .offset:         64
        .size:           8
        .value_kind:     global_buffer
      - .actual_access:  read_only
        .address_space:  global
        .offset:         72
        .size:           8
        .value_kind:     global_buffer
      - .address_space:  global
        .offset:         80
        .size:           8
        .value_kind:     global_buffer
    .group_segment_fixed_size: 0
    .kernarg_segment_align: 8
    .kernarg_segment_size: 88
    .language:       OpenCL C
    .language_version:
      - 2
      - 0
    .max_flat_workgroup_size: 110
    .name:           fft_rtc_fwd_len154_factors_11_7_2_wgs_110_tpt_22_half_ip_CI_unitstride_sbrr_dirReg
    .private_segment_fixed_size: 0
    .sgpr_count:     34
    .sgpr_spill_count: 0
    .symbol:         fft_rtc_fwd_len154_factors_11_7_2_wgs_110_tpt_22_half_ip_CI_unitstride_sbrr_dirReg.kd
    .uniform_work_group_size: 1
    .uses_dynamic_stack: false
    .vgpr_count:     95
    .vgpr_spill_count: 0
    .wavefront_size: 32
    .workgroup_processor_mode: 1
amdhsa.target:   amdgcn-amd-amdhsa--gfx1201
amdhsa.version:
  - 1
  - 2
...

	.end_amdgpu_metadata
